;; amdgpu-corpus repo=ROCm/rocFFT kind=compiled arch=gfx1030 opt=O3
	.text
	.amdgcn_target "amdgcn-amd-amdhsa--gfx1030"
	.amdhsa_code_object_version 6
	.protected	fft_rtc_fwd_len128_factors_2_4_4_4_wgs_128_tpt_8_dim2_dp_op_CI_CI_sbrc_aligned_dirReg ; -- Begin function fft_rtc_fwd_len128_factors_2_4_4_4_wgs_128_tpt_8_dim2_dp_op_CI_CI_sbrc_aligned_dirReg
	.globl	fft_rtc_fwd_len128_factors_2_4_4_4_wgs_128_tpt_8_dim2_dp_op_CI_CI_sbrc_aligned_dirReg
	.p2align	8
	.type	fft_rtc_fwd_len128_factors_2_4_4_4_wgs_128_tpt_8_dim2_dp_op_CI_CI_sbrc_aligned_dirReg,@function
fft_rtc_fwd_len128_factors_2_4_4_4_wgs_128_tpt_8_dim2_dp_op_CI_CI_sbrc_aligned_dirReg: ; @fft_rtc_fwd_len128_factors_2_4_4_4_wgs_128_tpt_8_dim2_dp_op_CI_CI_sbrc_aligned_dirReg
; %bb.0:
	s_load_dwordx8 s[8:15], s[4:5], 0x0
	v_lshrrev_b32_e32 v65, 4, v0
	v_and_b32_e32 v66, 15, v0
	v_lshl_add_u32 v72, v0, 8, 0
	v_bfe_u32 v71, v0, 4, 1
	v_lshlrev_b32_e32 v70, 8, v65
	v_lshlrev_b32_e32 v69, 4, v66
	v_or_b32_e32 v67, 8, v65
	v_add3_u32 v68, 0, v70, v69
	v_add_nc_u32_e32 v70, v68, v70
	s_waitcnt lgkmcnt(0)
	s_load_dword s0, s[10:11], 0x8
	s_clause 0x1
	s_load_dwordx4 s[16:19], s[12:13], 0x0
	s_load_dwordx2 s[20:21], s[12:13], 0x10
	s_load_dwordx2 s[10:11], s[14:15], 0x10
	s_waitcnt lgkmcnt(0)
	s_add_i32 s0, s0, -1
	s_lshr_b32 s0, s0, 4
	s_add_i32 s7, s0, 1
	s_not_b32 s0, s0
	v_cvt_f32_u32_e32 v1, s7
	v_rcp_iflag_f32_e32 v1, v1
	v_mul_f32_e32 v1, 0x4f7ffffe, v1
	v_cvt_u32_f32_e32 v1, v1
	v_readfirstlane_b32 s1, v1
	v_mad_u64_u32 v[1:2], null, s16, v0, 0
	s_mul_i32 s0, s0, s1
	s_mul_hi_u32 s0, s1, s0
	v_mad_u64_u32 v[2:3], null, s17, v0, v[2:3]
	s_add_i32 s1, s1, s0
	s_mul_hi_u32 s12, s6, s1
	s_mul_i32 s0, s12, s7
	s_add_i32 s16, s12, 1
	s_sub_i32 s13, s6, s0
	s_load_dwordx4 s[0:3], s[4:5], 0x50
	s_sub_i32 s17, s13, s7
	s_cmp_ge_u32 s13, s7
	v_lshlrev_b64 v[1:2], 4, v[1:2]
	s_cselect_b32 s4, s16, s12
	s_cselect_b32 s5, s17, s13
	s_add_i32 s12, s4, 1
	s_cmp_ge_u32 s5, s7
	s_mov_b32 s5, 0
	s_cselect_b32 s12, s12, s4
	s_mul_i32 s4, s12, s7
	s_mul_i32 s7, s21, s12
	s_mul_hi_u32 s13, s20, s12
	s_sub_i32 s4, s6, s4
	s_mul_i32 s16, s20, s12
	s_add_i32 s17, s13, s7
	s_mul_i32 s11, s11, s12
	s_mul_hi_u32 s19, s10, s12
	s_lshl_b32 s13, s4, 4
	s_lshl_b64 s[6:7], s[16:17], 4
	s_add_i32 s11, s19, s11
	s_mul_i32 s4, s13, s18
	s_waitcnt lgkmcnt(0)
	s_add_u32 s6, s0, s6
	s_addc_u32 s7, s1, s7
	s_lshl_b64 s[0:1], s[4:5], 4
	s_mov_b32 s19, s5
	s_add_u32 s20, s6, s0
	s_addc_u32 s21, s7, s1
	v_add_co_u32 v41, vcc_lo, s20, v1
	v_add_co_ci_u32_e32 v42, vcc_lo, s21, v2, vcc_lo
	s_lshl_b64 s[6:7], s[18:19], 4
	s_add_i32 s4, s18, s18
	v_add_co_u32 v5, vcc_lo, v41, s6
	s_lshl_b64 s[0:1], s[4:5], 4
	s_add_i32 s4, s4, s18
	v_add_co_ci_u32_e32 v6, vcc_lo, s7, v42, vcc_lo
	v_add_co_u32 v9, vcc_lo, v41, s0
	s_lshl_b64 s[16:17], s[4:5], 4
	s_add_i32 s4, s4, s18
	v_add_co_ci_u32_e32 v10, vcc_lo, s1, v42, vcc_lo
	;; [unrolled: 4-line block ×9, first 2 shown]
	v_add_co_u32 v43, vcc_lo, v41, s6
	s_lshl_b64 s[0:1], s[4:5], 4
	v_add_co_ci_u32_e32 v44, vcc_lo, s7, v42, vcc_lo
	s_add_i32 s4, s4, s18
	v_add_co_u32 v45, vcc_lo, v41, s0
	v_add_co_ci_u32_e32 v46, vcc_lo, s1, v42, vcc_lo
	s_lshl_b64 s[0:1], s[4:5], 4
	s_add_i32 s4, s4, s18
	v_add_co_u32 v49, vcc_lo, v41, s0
	v_add_co_ci_u32_e32 v50, vcc_lo, s1, v42, vcc_lo
	s_lshl_b64 s[0:1], s[4:5], 4
	;; [unrolled: 4-line block ×4, first 2 shown]
	s_clause 0x3
	global_load_dwordx4 v[1:4], v[41:42], off
	global_load_dwordx4 v[5:8], v[5:6], off
	;; [unrolled: 1-line block ×4, first 2 shown]
	v_add_co_u32 v61, vcc_lo, v41, s0
	v_add_co_ci_u32_e32 v62, vcc_lo, s1, v42, vcc_lo
	s_clause 0xb
	global_load_dwordx4 v[17:20], v[17:18], off
	global_load_dwordx4 v[21:24], v[21:22], off
	;; [unrolled: 1-line block ×12, first 2 shown]
	s_load_dwordx4 s[4:7], s[14:15], 0x0
	v_or_b32_e32 v66, s13, v66
	s_mul_i32 s10, s10, s12
	s_waitcnt vmcnt(15)
	ds_write_b128 v72, v[1:4]
	s_waitcnt vmcnt(14)
	ds_write_b128 v72, v[5:8] offset:16
	s_waitcnt vmcnt(13)
	ds_write_b128 v72, v[9:12] offset:32
	s_waitcnt vmcnt(12)
	ds_write_b128 v72, v[13:16] offset:48
	s_waitcnt vmcnt(11)
	ds_write_b128 v72, v[17:20] offset:64
	s_waitcnt vmcnt(10)
	ds_write_b128 v72, v[21:24] offset:80
	s_waitcnt vmcnt(9)
	ds_write_b128 v72, v[25:28] offset:96
	s_waitcnt vmcnt(8)
	ds_write_b128 v72, v[29:32] offset:112
	s_waitcnt vmcnt(7)
	ds_write_b128 v72, v[33:36] offset:128
	s_waitcnt vmcnt(6)
	ds_write_b128 v72, v[37:40] offset:144
	s_waitcnt vmcnt(5)
	ds_write_b128 v72, v[41:44] offset:160
	s_waitcnt vmcnt(4)
	ds_write_b128 v72, v[45:48] offset:176
	s_waitcnt vmcnt(3)
	ds_write_b128 v72, v[49:52] offset:192
	s_waitcnt vmcnt(2)
	ds_write_b128 v72, v[53:56] offset:208
	s_waitcnt vmcnt(1)
	ds_write_b128 v72, v[57:60] offset:224
	s_waitcnt vmcnt(0)
	ds_write_b128 v72, v[61:64] offset:240
	s_waitcnt lgkmcnt(0)
	s_barrier
	buffer_gl0_inv
	ds_read_b128 v[6:9], v68 offset:16384
	ds_read_b128 v[10:13], v68
	ds_read_b128 v[14:17], v68 offset:2048
	ds_read_b128 v[18:21], v68 offset:18432
	;; [unrolled: 1-line block ×14, first 2 shown]
	v_or_b32_e32 v5, 16, v65
	v_or_b32_e32 v4, 24, v65
	;; [unrolled: 1-line block ×3, first 2 shown]
	v_mul_u32_u24_e32 v2, 3, v71
	v_lshlrev_b32_e32 v3, 9, v67
	s_waitcnt lgkmcnt(14)
	v_add_f64 v[6:7], v[10:11], -v[6:7]
	v_add_f64 v[8:9], v[12:13], -v[8:9]
	s_waitcnt lgkmcnt(12)
	v_add_f64 v[18:19], v[14:15], -v[18:19]
	v_add_f64 v[20:21], v[16:17], -v[20:21]
	;; [unrolled: 3-line block ×8, first 2 shown]
	v_lshlrev_b32_e32 v62, 9, v5
	v_lshlrev_b32_e32 v63, 9, v4
	;; [unrolled: 1-line block ×4, first 2 shown]
	v_add3_u32 v3, 0, v3, v69
	v_add3_u32 v62, 0, v62, v69
	v_fma_f64 v[10:11], v[10:11], 2.0, -v[6:7]
	v_fma_f64 v[12:13], v[12:13], 2.0, -v[8:9]
	;; [unrolled: 1-line block ×16, first 2 shown]
	v_add3_u32 v96, 0, v63, v69
	v_add3_u32 v63, 0, v64, v69
	s_barrier
	buffer_gl0_inv
	ds_write_b128 v70, v[6:9] offset:256
	ds_write_b128 v3, v[18:21] offset:256
	;; [unrolled: 1-line block ×8, first 2 shown]
	ds_write_b128 v70, v[10:13]
	ds_write_b128 v3, v[14:17]
	;; [unrolled: 1-line block ×5, first 2 shown]
	ds_write_b128 v70, v[46:49] offset:20480
	ds_write_b128 v70, v[58:61] offset:24576
	;; [unrolled: 1-line block ×3, first 2 shown]
	s_waitcnt lgkmcnt(0)
	s_barrier
	buffer_gl0_inv
	s_clause 0x2
	global_load_dwordx4 v[10:13], v2, s[8:9]
	global_load_dwordx4 v[14:17], v2, s[8:9] offset:16
	global_load_dwordx4 v[18:21], v2, s[8:9] offset:32
	v_lshlrev_b32_e32 v1, 8, v1
	v_lshlrev_b32_e32 v3, 8, v5
	v_lshl_or_b32 v70, v4, 2, v65
	s_lshl_b64 s[0:1], s[10:11], 4
	v_sub_nc_u32_e32 v8, v63, v1
	ds_read_b128 v[22:25], v8
	ds_read_b128 v[26:29], v68 offset:10240
	ds_read_b128 v[30:33], v68 offset:12288
	;; [unrolled: 1-line block ×3, first 2 shown]
	v_lshlrev_b32_e32 v1, 8, v67
	s_add_u32 s2, s0, s2
	s_addc_u32 s1, s1, s3
	s_lshl_b32 s0, s6, 5
	v_add3_u32 v9, 0, v1, v69
	ds_read_b128 v[38:41], v9
	ds_read_b128 v[42:45], v68 offset:16384
	ds_read_b128 v[46:49], v68 offset:18432
	ds_read_b128 v[50:53], v68
	ds_read_b128 v[54:57], v68 offset:20480
	ds_read_b128 v[58:61], v68 offset:24576
	;; [unrolled: 1-line block ×4, first 2 shown]
	s_waitcnt vmcnt(2) lgkmcnt(11)
	v_mul_f64 v[1:2], v[24:25], v[12:13]
	v_mul_f64 v[6:7], v[22:23], v[12:13]
	s_waitcnt lgkmcnt(10)
	v_mul_f64 v[62:63], v[28:29], v[12:13]
	v_mul_f64 v[80:81], v[26:27], v[12:13]
	s_waitcnt lgkmcnt(9)
	;; [unrolled: 3-line block ×3, first 2 shown]
	v_mul_f64 v[86:87], v[36:37], v[12:13]
	v_mul_f64 v[12:13], v[34:35], v[12:13]
	s_waitcnt vmcnt(1) lgkmcnt(6)
	v_mul_f64 v[88:89], v[44:45], v[16:17]
	v_mul_f64 v[90:91], v[42:43], v[16:17]
	s_waitcnt lgkmcnt(5)
	v_mul_f64 v[94:95], v[46:47], v[16:17]
	v_fma_f64 v[1:2], v[22:23], v[10:11], -v[1:2]
	v_fma_f64 v[92:93], v[24:25], v[10:11], v[6:7]
	ds_read_b128 v[22:25], v68 offset:28672
	v_fma_f64 v[26:27], v[26:27], v[10:11], -v[62:63]
	v_fma_f64 v[28:29], v[28:29], v[10:11], v[80:81]
	s_waitcnt lgkmcnt(4)
	v_mul_f64 v[62:63], v[56:57], v[16:17]
	v_fma_f64 v[30:31], v[30:31], v[10:11], -v[82:83]
	v_mul_f64 v[80:81], v[54:55], v[16:17]
	s_waitcnt vmcnt(0) lgkmcnt(3)
	v_mul_f64 v[82:83], v[60:61], v[20:21]
	v_fma_f64 v[32:33], v[32:33], v[10:11], v[84:85]
	v_fma_f64 v[34:35], v[34:35], v[10:11], -v[86:87]
	v_fma_f64 v[36:37], v[36:37], v[10:11], v[12:13]
	ds_read_b128 v[10:13], v68 offset:30720
	v_mul_f64 v[84:85], v[58:59], v[20:21]
	v_mul_f64 v[6:7], v[48:49], v[16:17]
	v_fma_f64 v[42:43], v[42:43], v[14:15], -v[88:89]
	s_waitcnt lgkmcnt(2)
	v_mul_f64 v[86:87], v[78:79], v[20:21]
	v_mul_f64 v[88:89], v[76:77], v[20:21]
	v_fma_f64 v[44:45], v[44:45], v[14:15], v[90:91]
	v_fma_f64 v[48:49], v[48:49], v[14:15], v[94:95]
	s_waitcnt lgkmcnt(1)
	v_mul_f64 v[90:91], v[24:25], v[20:21]
	v_mul_f64 v[94:95], v[22:23], v[20:21]
	v_fma_f64 v[54:55], v[54:55], v[14:15], -v[62:63]
	v_mul_f64 v[62:63], v[74:75], v[16:17]
	v_fma_f64 v[56:57], v[56:57], v[14:15], v[80:81]
	v_mul_f64 v[16:17], v[72:73], v[16:17]
	v_fma_f64 v[58:59], v[58:59], v[18:19], -v[82:83]
	s_waitcnt lgkmcnt(0)
	v_mul_f64 v[80:81], v[12:13], v[20:21]
	v_mul_f64 v[82:83], v[10:11], v[20:21]
	v_fma_f64 v[60:61], v[60:61], v[18:19], v[84:85]
	v_fma_f64 v[46:47], v[46:47], v[14:15], -v[6:7]
	v_lshlrev_b32_e32 v6, 8, v4
	v_fma_f64 v[76:77], v[76:77], v[18:19], -v[86:87]
	v_fma_f64 v[78:79], v[78:79], v[18:19], v[88:89]
	v_add3_u32 v7, 0, v3, v69
	v_add_f64 v[42:43], v[50:51], -v[42:43]
	v_sub_nc_u32_e32 v6, v96, v6
	v_add_f64 v[44:45], v[52:53], -v[44:45]
	v_fma_f64 v[84:85], v[22:23], v[18:19], -v[90:91]
	v_fma_f64 v[24:25], v[24:25], v[18:19], v[94:95]
	ds_read_b128 v[20:23], v7
	v_add_f64 v[48:49], v[40:41], -v[48:49]
	v_fma_f64 v[62:63], v[72:73], v[14:15], -v[62:63]
	v_fma_f64 v[72:73], v[74:75], v[14:15], v[16:17]
	ds_read_b128 v[14:17], v6
	v_fma_f64 v[10:11], v[10:11], v[18:19], -v[80:81]
	v_fma_f64 v[12:13], v[12:13], v[18:19], v[82:83]
	v_add_f64 v[18:19], v[1:2], -v[58:59]
	v_add_f64 v[58:59], v[92:93], -v[60:61]
	;; [unrolled: 1-line block ×3, first 2 shown]
	s_waitcnt lgkmcnt(0)
	v_add_f64 v[60:61], v[26:27], -v[76:77]
	v_add_f64 v[74:75], v[28:29], -v[78:79]
	s_barrier
	v_fma_f64 v[50:51], v[50:51], 2.0, -v[42:43]
	buffer_gl0_inv
	v_fma_f64 v[52:53], v[52:53], 2.0, -v[44:45]
	v_add_f64 v[76:77], v[20:21], -v[54:55]
	v_add_f64 v[78:79], v[22:23], -v[56:57]
	;; [unrolled: 1-line block ×4, first 2 shown]
	v_fma_f64 v[86:87], v[40:41], 2.0, -v[48:49]
	v_add_f64 v[62:63], v[14:15], -v[62:63]
	v_add_f64 v[82:83], v[16:17], -v[72:73]
	;; [unrolled: 1-line block ×4, first 2 shown]
	v_lshrrev_b32_e32 v10, 2, v0
	v_fma_f64 v[0:1], v[1:2], 2.0, -v[18:19]
	v_fma_f64 v[2:3], v[92:93], 2.0, -v[58:59]
	;; [unrolled: 1-line block ×5, first 2 shown]
	v_lshl_or_b32 v11, v67, 2, v65
	v_lshl_or_b32 v12, v5, 2, v65
	v_and_or_b32 v64, v10, 24, v71
	v_fma_f64 v[88:89], v[20:21], 2.0, -v[76:77]
	v_fma_f64 v[90:91], v[22:23], 2.0, -v[78:79]
	;; [unrolled: 1-line block ×4, first 2 shown]
	v_and_b32_e32 v71, 57, v11
	v_and_b32_e32 v96, 0x59, v12
	v_add_f64 v[10:11], v[42:43], -v[58:59]
	v_fma_f64 v[92:93], v[14:15], 2.0, -v[62:63]
	v_fma_f64 v[94:95], v[16:17], 2.0, -v[82:83]
	v_add_f64 v[12:13], v[44:45], v[18:19]
	v_fma_f64 v[38:39], v[34:35], 2.0, -v[72:73]
	v_fma_f64 v[36:37], v[36:37], 2.0, -v[80:81]
	v_add_f64 v[14:15], v[46:47], -v[74:75]
	v_add_f64 v[18:19], v[50:51], -v[0:1]
	v_add_f64 v[20:21], v[52:53], -v[2:3]
	v_add_f64 v[16:17], v[48:49], v[60:61]
	v_add_f64 v[22:23], v[84:85], -v[24:25]
	v_add_f64 v[24:25], v[86:87], -v[26:27]
	v_add_f64 v[26:27], v[76:77], -v[56:57]
	v_add_f64 v[34:35], v[62:63], -v[80:81]
	v_and_b32_e32 v0, 0x79, v70
	v_lshlrev_b32_e32 v3, 8, v71
	v_mul_u32_u24_e32 v1, 3, v65
	v_lshlrev_b32_e32 v2, 8, v64
	v_add_f64 v[30:31], v[88:89], -v[28:29]
	v_add_f64 v[32:33], v[90:91], -v[32:33]
	v_add_f64 v[28:29], v[78:79], v[54:55]
	v_lshlrev_b32_e32 v64, 8, v96
	v_fma_f64 v[42:43], v[42:43], 2.0, -v[10:11]
	v_lshlrev_b32_e32 v96, 8, v0
	v_lshlrev_b32_e32 v0, 4, v1
	v_fma_f64 v[44:45], v[44:45], 2.0, -v[12:13]
	v_add_f64 v[38:39], v[92:93], -v[38:39]
	v_add_f64 v[40:41], v[94:95], -v[36:37]
	v_add_f64 v[36:37], v[82:83], v[72:73]
	v_fma_f64 v[50:51], v[50:51], 2.0, -v[18:19]
	v_fma_f64 v[52:53], v[52:53], 2.0, -v[20:21]
	;; [unrolled: 1-line block ×8, first 2 shown]
	v_add3_u32 v1, 0, v2, v69
	v_add3_u32 v2, 0, v3, v69
	;; [unrolled: 1-line block ×3, first 2 shown]
	v_fma_f64 v[70:71], v[88:89], 2.0, -v[30:31]
	v_fma_f64 v[72:73], v[90:91], 2.0, -v[32:33]
	;; [unrolled: 1-line block ×3, first 2 shown]
	v_add3_u32 v62, 0, v96, v69
	v_mul_lo_u32 v64, v65, s6
	v_mov_b32_e32 v65, 0
	v_fma_f64 v[78:79], v[92:93], 2.0, -v[38:39]
	v_fma_f64 v[80:81], v[94:95], 2.0, -v[40:41]
	;; [unrolled: 1-line block ×3, first 2 shown]
	ds_write_b128 v1, v[10:13] offset:1536
	ds_write_b128 v1, v[42:45] offset:512
	;; [unrolled: 1-line block ×3, first 2 shown]
	ds_write_b128 v1, v[50:53]
	ds_write_b128 v2, v[54:57]
	ds_write_b128 v2, v[46:49] offset:512
	ds_write_b128 v2, v[22:25] offset:1024
	ds_write_b128 v2, v[14:17] offset:1536
	ds_write_b128 v3, v[70:73]
	ds_write_b128 v3, v[58:61] offset:512
	ds_write_b128 v3, v[30:33] offset:1024
	ds_write_b128 v3, v[26:29] offset:1536
	;; [unrolled: 4-line block ×3, first 2 shown]
	s_waitcnt lgkmcnt(0)
	s_barrier
	buffer_gl0_inv
	s_clause 0x2
	global_load_dwordx4 v[10:13], v0, s[8:9] offset:96
	global_load_dwordx4 v[14:17], v0, s[8:9] offset:112
	;; [unrolled: 1-line block ×3, first 2 shown]
	ds_read_b128 v[22:25], v8
	ds_read_b128 v[26:29], v68 offset:10240
	ds_read_b128 v[30:33], v68 offset:12288
	;; [unrolled: 1-line block ×3, first 2 shown]
	ds_read_b128 v[38:41], v9
	ds_read_b128 v[42:45], v68 offset:16384
	ds_read_b128 v[46:49], v68 offset:18432
	ds_read_b128 v[50:53], v68
	ds_read_b128 v[54:57], v68 offset:20480
	ds_read_b128 v[58:61], v68 offset:22528
	;; [unrolled: 1-line block ×4, first 2 shown]
	s_waitcnt vmcnt(2) lgkmcnt(9)
	v_mul_f64 v[81:82], v[32:33], v[12:13]
	v_mul_f64 v[1:2], v[24:25], v[12:13]
	;; [unrolled: 1-line block ×6, first 2 shown]
	s_waitcnt lgkmcnt(8)
	v_mul_f64 v[85:86], v[36:37], v[12:13]
	v_mul_f64 v[12:13], v[34:35], v[12:13]
	s_waitcnt vmcnt(1) lgkmcnt(6)
	v_mul_f64 v[87:88], v[44:45], v[16:17]
	v_mul_f64 v[89:90], v[42:43], v[16:17]
	s_waitcnt lgkmcnt(5)
	v_mul_f64 v[91:92], v[48:49], v[16:17]
	v_mul_f64 v[93:94], v[46:47], v[16:17]
	v_fma_f64 v[30:31], v[30:31], v[10:11], -v[81:82]
	s_waitcnt lgkmcnt(2)
	v_mul_f64 v[81:82], v[60:61], v[16:17]
	v_fma_f64 v[1:2], v[22:23], v[10:11], -v[1:2]
	v_fma_f64 v[62:63], v[24:25], v[10:11], v[62:63]
	v_fma_f64 v[77:78], v[26:27], v[10:11], -v[77:78]
	v_fma_f64 v[79:80], v[28:29], v[10:11], v[79:80]
	v_fma_f64 v[32:33], v[32:33], v[10:11], v[83:84]
	v_fma_f64 v[34:35], v[34:35], v[10:11], -v[85:86]
	v_fma_f64 v[36:37], v[36:37], v[10:11], v[12:13]
	ds_read_b128 v[10:13], v68 offset:28672
	ds_read_b128 v[22:25], v68 offset:30720
	v_mul_f64 v[26:27], v[56:57], v[16:17]
	v_mul_f64 v[28:29], v[54:55], v[16:17]
	;; [unrolled: 1-line block ×3, first 2 shown]
	s_waitcnt vmcnt(0) lgkmcnt(3)
	v_mul_f64 v[83:84], v[71:72], v[20:21]
	v_mul_f64 v[85:86], v[69:70], v[20:21]
	v_fma_f64 v[42:43], v[42:43], v[14:15], -v[87:88]
	v_fma_f64 v[44:45], v[44:45], v[14:15], v[89:90]
	s_waitcnt lgkmcnt(2)
	v_mul_f64 v[87:88], v[75:76], v[20:21]
	v_mul_f64 v[89:90], v[73:74], v[20:21]
	v_fma_f64 v[46:47], v[46:47], v[14:15], -v[91:92]
	v_fma_f64 v[48:49], v[48:49], v[14:15], v[93:94]
	v_fma_f64 v[58:59], v[58:59], v[14:15], -v[81:82]
	s_waitcnt lgkmcnt(1)
	v_mul_f64 v[91:92], v[12:13], v[20:21]
	v_mul_f64 v[93:94], v[10:11], v[20:21]
	s_waitcnt lgkmcnt(0)
	v_mul_f64 v[81:82], v[24:25], v[20:21]
	v_mul_f64 v[20:21], v[22:23], v[20:21]
	v_fma_f64 v[54:55], v[54:55], v[14:15], -v[26:27]
	v_fma_f64 v[56:57], v[56:57], v[14:15], v[28:29]
	v_fma_f64 v[60:61], v[60:61], v[14:15], v[16:17]
	v_fma_f64 v[69:70], v[69:70], v[18:19], -v[83:84]
	v_fma_f64 v[71:72], v[71:72], v[18:19], v[85:86]
	ds_read_b128 v[14:17], v7
	ds_read_b128 v[26:29], v6
	v_fma_f64 v[73:74], v[73:74], v[18:19], -v[87:88]
	v_fma_f64 v[75:76], v[75:76], v[18:19], v[89:90]
	v_add_f64 v[42:43], v[50:51], -v[42:43]
	v_add_f64 v[44:45], v[52:53], -v[44:45]
	;; [unrolled: 1-line block ×4, first 2 shown]
	s_waitcnt lgkmcnt(0)
	s_barrier
	buffer_gl0_inv
	v_fma_f64 v[10:11], v[10:11], v[18:19], -v[91:92]
	v_fma_f64 v[12:13], v[12:13], v[18:19], v[93:94]
	v_fma_f64 v[22:23], v[22:23], v[18:19], -v[81:82]
	v_fma_f64 v[18:19], v[24:25], v[18:19], v[20:21]
	v_add_f64 v[20:21], v[1:2], -v[69:70]
	v_add_f64 v[60:61], v[28:29], -v[60:61]
	;; [unrolled: 1-line block ×8, first 2 shown]
	v_fma_f64 v[83:84], v[50:51], 2.0, -v[42:43]
	v_fma_f64 v[85:86], v[52:53], 2.0, -v[44:45]
	v_fma_f64 v[87:88], v[38:39], 2.0, -v[46:47]
	v_fma_f64 v[89:90], v[40:41], 2.0, -v[48:49]
	v_add_f64 v[73:74], v[30:31], -v[10:11]
	v_add_f64 v[75:76], v[32:33], -v[12:13]
	;; [unrolled: 1-line block ×4, first 2 shown]
	v_fma_f64 v[1:2], v[1:2], 2.0, -v[20:21]
	v_fma_f64 v[97:98], v[28:29], 2.0, -v[60:61]
	;; [unrolled: 1-line block ×8, first 2 shown]
	v_add_f64 v[10:11], v[42:43], -v[24:25]
	v_add_f64 v[12:13], v[44:45], v[20:21]
	v_add_f64 v[14:15], v[46:47], -v[71:72]
	v_add_f64 v[16:17], v[48:49], v[69:70]
	v_fma_f64 v[50:51], v[30:31], 2.0, -v[73:74]
	v_fma_f64 v[52:53], v[32:33], 2.0, -v[75:76]
	;; [unrolled: 1-line block ×4, first 2 shown]
	v_add_f64 v[18:19], v[54:55], -v[75:76]
	v_add_f64 v[20:21], v[56:57], v[73:74]
	v_add_f64 v[22:23], v[58:59], -v[22:23]
	v_add_f64 v[24:25], v[60:61], v[81:82]
	v_add_f64 v[26:27], v[83:84], -v[1:2]
	v_add_f64 v[28:29], v[85:86], -v[28:29]
	;; [unrolled: 1-line block ×4, first 2 shown]
	v_fma_f64 v[42:43], v[42:43], 2.0, -v[10:11]
	v_fma_f64 v[44:45], v[44:45], 2.0, -v[12:13]
	;; [unrolled: 1-line block ×4, first 2 shown]
	v_add_f64 v[34:35], v[91:92], -v[50:51]
	v_add_f64 v[36:37], v[93:94], -v[52:53]
	;; [unrolled: 1-line block ×4, first 2 shown]
	v_fma_f64 v[50:51], v[54:55], 2.0, -v[18:19]
	v_fma_f64 v[52:53], v[56:57], 2.0, -v[20:21]
	;; [unrolled: 1-line block ×12, first 2 shown]
	ds_write_b128 v68, v[10:13] offset:6144
	ds_write_b128 v68, v[14:17] offset:14336
	;; [unrolled: 1-line block ×12, first 2 shown]
	ds_write_b128 v68, v[58:61]
	ds_write_b128 v68, v[69:72] offset:8192
	ds_write_b128 v68, v[73:76] offset:16384
	;; [unrolled: 1-line block ×3, first 2 shown]
	s_waitcnt lgkmcnt(0)
	s_barrier
	buffer_gl0_inv
	s_clause 0x2
	global_load_dwordx4 v[10:13], v0, s[8:9] offset:480
	global_load_dwordx4 v[14:17], v0, s[8:9] offset:496
	global_load_dwordx4 v[18:21], v0, s[8:9] offset:512
	v_mul_u32_u24_e32 v0, 3, v67
	v_lshlrev_b32_e32 v0, 4, v0
	s_clause 0x2
	global_load_dwordx4 v[22:25], v0, s[8:9] offset:480
	global_load_dwordx4 v[26:29], v0, s[8:9] offset:496
	global_load_dwordx4 v[30:33], v0, s[8:9] offset:512
	v_mul_u32_u24_e32 v0, 3, v5
	v_lshlrev_b32_e32 v0, 4, v0
	;; [unrolled: 6-line block ×3, first 2 shown]
	s_clause 0x2
	global_load_dwordx4 v[46:49], v0, s[8:9] offset:480
	global_load_dwordx4 v[50:53], v0, s[8:9] offset:496
	;; [unrolled: 1-line block ×3, first 2 shown]
	ds_read_b128 v[54:57], v8
	ds_read_b128 v[58:61], v68 offset:16384
	ds_read_b128 v[69:72], v9
	ds_read_b128 v[73:76], v68 offset:24576
	ds_read_b128 v[77:80], v68 offset:18432
	;; [unrolled: 1-line block ×4, first 2 shown]
	s_waitcnt vmcnt(11) lgkmcnt(6)
	v_mul_f64 v[8:9], v[56:57], v[12:13]
	v_mul_f64 v[12:13], v[54:55], v[12:13]
	s_waitcnt vmcnt(10) lgkmcnt(5)
	v_mul_f64 v[62:63], v[60:61], v[16:17]
	v_mul_f64 v[16:17], v[58:59], v[16:17]
	;; [unrolled: 3-line block ×3, first 2 shown]
	v_fma_f64 v[54:55], v[54:55], v[10:11], -v[8:9]
	v_fma_f64 v[56:57], v[56:57], v[10:11], v[12:13]
	v_mul_f64 v[12:13], v[75:76], v[20:21]
	v_mul_f64 v[20:21], v[73:74], v[20:21]
	v_fma_f64 v[60:61], v[60:61], v[14:15], v[16:17]
	v_mul_f64 v[16:17], v[83:84], v[24:25]
	v_mul_f64 v[24:25], v[81:82], v[24:25]
	v_fma_f64 v[58:59], v[58:59], v[14:15], -v[62:63]
	v_mul_f64 v[62:63], v[79:80], v[28:29]
	v_mul_f64 v[28:29], v[77:78], v[28:29]
	ds_read_b128 v[8:11], v68
	v_fma_f64 v[85:86], v[85:86], v[30:31], -v[89:90]
	v_fma_f64 v[32:33], v[87:88], v[30:31], v[32:33]
	v_fma_f64 v[73:74], v[73:74], v[18:19], -v[12:13]
	ds_read_b128 v[12:15], v68 offset:12288
	v_fma_f64 v[75:76], v[75:76], v[18:19], v[20:21]
	v_fma_f64 v[81:82], v[81:82], v[22:23], -v[16:17]
	v_fma_f64 v[83:84], v[83:84], v[22:23], v[24:25]
	ds_read_b128 v[16:19], v68 offset:20480
	ds_read_b128 v[20:23], v68 offset:14336
	v_fma_f64 v[62:63], v[77:78], v[26:27], -v[62:63]
	v_fma_f64 v[77:78], v[79:80], v[26:27], v[28:29]
	ds_read_b128 v[24:27], v68 offset:22528
	ds_read_b128 v[28:31], v68 offset:28672
	s_waitcnt vmcnt(5) lgkmcnt(4)
	v_mul_f64 v[79:80], v[14:15], v[36:37]
	v_mul_f64 v[36:37], v[12:13], v[36:37]
	s_waitcnt vmcnt(4) lgkmcnt(3)
	v_mul_f64 v[87:88], v[18:19], v[40:41]
	v_mul_f64 v[40:41], v[16:17], v[40:41]
	s_waitcnt vmcnt(2) lgkmcnt(2)
	v_mul_f64 v[89:90], v[22:23], v[48:49]
	v_add_f64 v[32:33], v[83:84], -v[32:33]
	v_fma_f64 v[79:80], v[12:13], v[34:35], -v[79:80]
	v_fma_f64 v[34:35], v[14:15], v[34:35], v[36:37]
	v_mad_u64_u32 v[36:37], null, s4, v66, 0
	v_fma_f64 v[16:17], v[16:17], v[38:39], -v[87:88]
	v_fma_f64 v[18:19], v[18:19], v[38:39], v[40:41]
	s_waitcnt lgkmcnt(0)
	v_mul_f64 v[38:39], v[30:31], v[44:45]
	v_mul_f64 v[40:41], v[28:29], v[44:45]
	v_lshlrev_b64 v[87:88], 4, v[64:65]
	v_add_nc_u32_e32 v64, s0, v64
	ds_read_b128 v[12:15], v68 offset:30720
	v_mad_u64_u32 v[44:45], null, s5, v66, v[37:38]
	v_fma_f64 v[28:29], v[28:29], v[42:43], -v[38:39]
	v_mul_f64 v[38:39], v[20:21], v[48:49]
	v_fma_f64 v[30:31], v[30:31], v[42:43], v[40:41]
	v_fma_f64 v[20:21], v[20:21], v[46:47], -v[89:90]
	v_add_f64 v[48:49], v[10:11], -v[60:61]
	v_mov_b32_e32 v37, v44
	v_lshlrev_b64 v[44:45], 4, v[64:65]
	v_add_nc_u32_e32 v64, s0, v64
	v_lshlrev_b64 v[36:37], 4, v[36:37]
	v_add_co_u32 v68, vcc_lo, s2, v36
	v_add_co_ci_u32_e32 v107, vcc_lo, s1, v37, vcc_lo
	v_lshlrev_b64 v[36:37], 4, v[64:65]
	v_add_nc_u32_e32 v64, s0, v64
	v_add_co_u32 v40, vcc_lo, v68, v87
	v_add_co_ci_u32_e32 v41, vcc_lo, v107, v88, vcc_lo
	v_lshlrev_b64 v[42:43], 4, v[64:65]
	v_mul_lo_u32 v64, v67, s6
	v_add_co_u32 v66, vcc_lo, v68, v44
	v_add_co_ci_u32_e32 v67, vcc_lo, v107, v45, vcc_lo
	s_waitcnt vmcnt(1)
	v_mul_f64 v[44:45], v[26:27], v[52:53]
	v_fma_f64 v[22:23], v[22:23], v[46:47], v[38:39]
	v_mul_f64 v[38:39], v[24:25], v[52:53]
	v_add_f64 v[46:47], v[8:9], -v[58:59]
	v_add_f64 v[52:53], v[54:55], -v[73:74]
	;; [unrolled: 1-line block ×3, first 2 shown]
	v_add_co_u32 v87, vcc_lo, v68, v36
	v_add_co_ci_u32_e32 v88, vcc_lo, v107, v37, vcc_lo
	v_lshlrev_b64 v[36:37], 4, v[64:65]
	v_add_nc_u32_e32 v64, s0, v64
	v_add_co_u32 v89, vcc_lo, v68, v42
	v_add_co_ci_u32_e32 v90, vcc_lo, v107, v43, vcc_lo
	v_lshlrev_b64 v[42:43], 4, v[64:65]
	v_add_nc_u32_e32 v64, s0, v64
	v_add_co_u32 v60, vcc_lo, v68, v36
	v_add_co_ci_u32_e32 v61, vcc_lo, v107, v37, vcc_lo
	v_lshlrev_b64 v[36:37], 4, v[64:65]
	v_add_co_u32 v73, vcc_lo, v68, v42
	v_add_co_ci_u32_e32 v74, vcc_lo, v107, v43, vcc_lo
	s_waitcnt vmcnt(0) lgkmcnt(0)
	v_mul_f64 v[42:43], v[14:15], v[2:3]
	v_add_co_u32 v75, vcc_lo, v68, v36
	v_fma_f64 v[24:25], v[24:25], v[50:51], -v[44:45]
	v_mul_f64 v[2:3], v[12:13], v[2:3]
	v_add_co_ci_u32_e32 v76, vcc_lo, v107, v37, vcc_lo
	v_fma_f64 v[8:9], v[8:9], 2.0, -v[46:47]
	v_fma_f64 v[10:11], v[10:11], 2.0, -v[48:49]
	;; [unrolled: 1-line block ×4, first 2 shown]
	v_add_nc_u32_e32 v64, s0, v64
	v_fma_f64 v[26:27], v[26:27], v[50:51], v[38:39]
	v_add_f64 v[28:29], v[79:80], -v[28:29]
	v_add_f64 v[30:31], v[34:35], -v[30:31]
	v_lshlrev_b64 v[38:39], 4, v[64:65]
	v_mul_lo_u32 v64, v5, s6
	v_fma_f64 v[42:43], v[12:13], v[0:1], -v[42:43]
	v_add_co_u32 v91, vcc_lo, v68, v38
	v_lshlrev_b64 v[50:51], 4, v[64:65]
	v_fma_f64 v[54:55], v[14:15], v[0:1], v[2:3]
	v_add_nc_u32_e32 v64, s0, v64
	v_add_co_ci_u32_e32 v92, vcc_lo, v107, v39, vcc_lo
	v_add_f64 v[0:1], v[8:9], -v[36:37]
	v_add_f64 v[2:3], v[10:11], -v[44:45]
	v_lshlrev_b64 v[38:39], 4, v[64:65]
	v_add_nc_u32_e32 v64, s0, v64
	v_add_co_u32 v93, vcc_lo, v68, v50
	v_add_co_ci_u32_e32 v94, vcc_lo, v107, v51, vcc_lo
	v_lshlrev_b64 v[12:13], 4, v[64:65]
	v_add_nc_u32_e32 v64, s0, v64
	v_add_co_u32 v95, vcc_lo, v68, v38
	v_add_co_ci_u32_e32 v96, vcc_lo, v107, v39, vcc_lo
	v_lshlrev_b64 v[14:15], 4, v[64:65]
	v_mul_lo_u32 v64, v4, s6
	v_add_co_u32 v97, vcc_lo, v68, v12
	v_add_co_ci_u32_e32 v98, vcc_lo, v107, v13, vcc_lo
	v_add_co_u32 v99, vcc_lo, v68, v14
	v_fma_f64 v[8:9], v[8:9], 2.0, -v[0:1]
	v_fma_f64 v[10:11], v[10:11], 2.0, -v[2:3]
	v_lshlrev_b64 v[4:5], 4, v[64:65]
	v_add_nc_u32_e32 v64, s0, v64
	v_add_co_ci_u32_e32 v100, vcc_lo, v107, v15, vcc_lo
	v_add_f64 v[44:45], v[71:72], -v[77:78]
	v_add_f64 v[36:37], v[81:82], -v[85:86]
	v_lshlrev_b64 v[12:13], 4, v[64:65]
	v_add_co_u32 v101, vcc_lo, v68, v4
	v_add_co_ci_u32_e32 v102, vcc_lo, v107, v5, vcc_lo
	v_add_nc_u32_e32 v64, s0, v64
	v_add_co_u32 v103, vcc_lo, v68, v12
	v_add_co_ci_u32_e32 v104, vcc_lo, v107, v13, vcc_lo
	v_lshlrev_b64 v[4:5], 4, v[64:65]
	v_add_f64 v[38:39], v[20:21], -v[42:43]
	v_add_f64 v[42:43], v[22:23], -v[54:55]
	v_add_nc_u32_e32 v64, s0, v64
	global_store_dwordx4 v[40:41], v[8:11], off
	ds_read_b128 v[7:10], v7
	ds_read_b128 v[11:14], v6
	v_add_f64 v[40:41], v[69:70], -v[62:63]
	v_add_co_u32 v105, vcc_lo, v68, v4
	v_add_co_ci_u32_e32 v106, vcc_lo, v107, v5, vcc_lo
	v_lshlrev_b64 v[4:5], 4, v[64:65]
	v_add_co_u32 v64, vcc_lo, v68, v4
	v_add_co_ci_u32_e32 v65, vcc_lo, v107, v5, vcc_lo
	v_add_f64 v[4:5], v[46:47], -v[58:59]
	v_fma_f64 v[85:86], v[22:23], 2.0, -v[42:43]
	s_waitcnt lgkmcnt(1)
	v_add_f64 v[50:51], v[7:8], -v[16:17]
	v_add_f64 v[56:57], v[9:10], -v[18:19]
	s_waitcnt lgkmcnt(0)
	v_add_f64 v[62:63], v[11:12], -v[24:25]
	v_add_f64 v[77:78], v[13:14], -v[26:27]
	v_fma_f64 v[54:55], v[69:70], 2.0, -v[40:41]
	v_fma_f64 v[68:69], v[71:72], 2.0, -v[44:45]
	;; [unrolled: 1-line block ×11, first 2 shown]
	v_add_f64 v[6:7], v[48:49], v[52:53]
	v_add_f64 v[12:13], v[40:41], -v[32:33]
	v_add_f64 v[8:9], v[54:55], -v[15:16]
	;; [unrolled: 1-line block ×3, first 2 shown]
	v_add_f64 v[14:15], v[44:45], v[36:37]
	v_add_f64 v[20:21], v[50:51], -v[30:31]
	v_add_f64 v[22:23], v[56:57], v[28:29]
	v_add_f64 v[28:29], v[62:63], -v[42:43]
	v_add_f64 v[30:31], v[77:78], v[38:39]
	v_fma_f64 v[32:33], v[46:47], 2.0, -v[4:5]
	v_add_f64 v[16:17], v[70:71], -v[24:25]
	v_add_f64 v[18:19], v[81:82], -v[26:27]
	;; [unrolled: 1-line block ×4, first 2 shown]
	v_fma_f64 v[34:35], v[48:49], 2.0, -v[6:7]
	v_fma_f64 v[40:41], v[40:41], 2.0, -v[12:13]
	;; [unrolled: 1-line block ×13, first 2 shown]
	global_store_dwordx4 v[66:67], v[32:35], off
	global_store_dwordx4 v[87:88], v[0:3], off
	;; [unrolled: 1-line block ×15, first 2 shown]
	s_endpgm
	.section	.rodata,"a",@progbits
	.p2align	6, 0x0
	.amdhsa_kernel fft_rtc_fwd_len128_factors_2_4_4_4_wgs_128_tpt_8_dim2_dp_op_CI_CI_sbrc_aligned_dirReg
		.amdhsa_group_segment_fixed_size 0
		.amdhsa_private_segment_fixed_size 0
		.amdhsa_kernarg_size 96
		.amdhsa_user_sgpr_count 6
		.amdhsa_user_sgpr_private_segment_buffer 1
		.amdhsa_user_sgpr_dispatch_ptr 0
		.amdhsa_user_sgpr_queue_ptr 0
		.amdhsa_user_sgpr_kernarg_segment_ptr 1
		.amdhsa_user_sgpr_dispatch_id 0
		.amdhsa_user_sgpr_flat_scratch_init 0
		.amdhsa_user_sgpr_private_segment_size 0
		.amdhsa_wavefront_size32 1
		.amdhsa_uses_dynamic_stack 0
		.amdhsa_system_sgpr_private_segment_wavefront_offset 0
		.amdhsa_system_sgpr_workgroup_id_x 1
		.amdhsa_system_sgpr_workgroup_id_y 0
		.amdhsa_system_sgpr_workgroup_id_z 0
		.amdhsa_system_sgpr_workgroup_info 0
		.amdhsa_system_vgpr_workitem_id 0
		.amdhsa_next_free_vgpr 108
		.amdhsa_next_free_sgpr 22
		.amdhsa_reserve_vcc 1
		.amdhsa_reserve_flat_scratch 0
		.amdhsa_float_round_mode_32 0
		.amdhsa_float_round_mode_16_64 0
		.amdhsa_float_denorm_mode_32 3
		.amdhsa_float_denorm_mode_16_64 3
		.amdhsa_dx10_clamp 1
		.amdhsa_ieee_mode 1
		.amdhsa_fp16_overflow 0
		.amdhsa_workgroup_processor_mode 1
		.amdhsa_memory_ordered 1
		.amdhsa_forward_progress 0
		.amdhsa_shared_vgpr_count 0
		.amdhsa_exception_fp_ieee_invalid_op 0
		.amdhsa_exception_fp_denorm_src 0
		.amdhsa_exception_fp_ieee_div_zero 0
		.amdhsa_exception_fp_ieee_overflow 0
		.amdhsa_exception_fp_ieee_underflow 0
		.amdhsa_exception_fp_ieee_inexact 0
		.amdhsa_exception_int_div_zero 0
	.end_amdhsa_kernel
	.text
.Lfunc_end0:
	.size	fft_rtc_fwd_len128_factors_2_4_4_4_wgs_128_tpt_8_dim2_dp_op_CI_CI_sbrc_aligned_dirReg, .Lfunc_end0-fft_rtc_fwd_len128_factors_2_4_4_4_wgs_128_tpt_8_dim2_dp_op_CI_CI_sbrc_aligned_dirReg
                                        ; -- End function
	.section	.AMDGPU.csdata,"",@progbits
; Kernel info:
; codeLenInByte = 6068
; NumSgprs: 24
; NumVgprs: 108
; ScratchSize: 0
; MemoryBound: 0
; FloatMode: 240
; IeeeMode: 1
; LDSByteSize: 0 bytes/workgroup (compile time only)
; SGPRBlocks: 2
; VGPRBlocks: 13
; NumSGPRsForWavesPerEU: 24
; NumVGPRsForWavesPerEU: 108
; Occupancy: 9
; WaveLimiterHint : 1
; COMPUTE_PGM_RSRC2:SCRATCH_EN: 0
; COMPUTE_PGM_RSRC2:USER_SGPR: 6
; COMPUTE_PGM_RSRC2:TRAP_HANDLER: 0
; COMPUTE_PGM_RSRC2:TGID_X_EN: 1
; COMPUTE_PGM_RSRC2:TGID_Y_EN: 0
; COMPUTE_PGM_RSRC2:TGID_Z_EN: 0
; COMPUTE_PGM_RSRC2:TIDIG_COMP_CNT: 0
	.text
	.p2alignl 6, 3214868480
	.fill 48, 4, 3214868480
	.type	__hip_cuid_feb49d7d569762e7,@object ; @__hip_cuid_feb49d7d569762e7
	.section	.bss,"aw",@nobits
	.globl	__hip_cuid_feb49d7d569762e7
__hip_cuid_feb49d7d569762e7:
	.byte	0                               ; 0x0
	.size	__hip_cuid_feb49d7d569762e7, 1

	.ident	"AMD clang version 19.0.0git (https://github.com/RadeonOpenCompute/llvm-project roc-6.4.0 25133 c7fe45cf4b819c5991fe208aaa96edf142730f1d)"
	.section	".note.GNU-stack","",@progbits
	.addrsig
	.addrsig_sym __hip_cuid_feb49d7d569762e7
	.amdgpu_metadata
---
amdhsa.kernels:
  - .args:
      - .actual_access:  read_only
        .address_space:  global
        .offset:         0
        .size:           8
        .value_kind:     global_buffer
      - .actual_access:  read_only
        .address_space:  global
        .offset:         8
        .size:           8
        .value_kind:     global_buffer
      - .actual_access:  read_only
        .address_space:  global
        .offset:         16
        .size:           8
        .value_kind:     global_buffer
      - .actual_access:  read_only
        .address_space:  global
        .offset:         24
        .size:           8
        .value_kind:     global_buffer
      - .offset:         32
        .size:           8
        .value_kind:     by_value
      - .actual_access:  read_only
        .address_space:  global
        .offset:         40
        .size:           8
        .value_kind:     global_buffer
      - .actual_access:  read_only
        .address_space:  global
        .offset:         48
        .size:           8
        .value_kind:     global_buffer
      - .offset:         56
        .size:           4
        .value_kind:     by_value
      - .actual_access:  read_only
        .address_space:  global
        .offset:         64
        .size:           8
        .value_kind:     global_buffer
      - .actual_access:  read_only
        .address_space:  global
        .offset:         72
        .size:           8
        .value_kind:     global_buffer
      - .actual_access:  read_only
        .address_space:  global
        .offset:         80
        .size:           8
        .value_kind:     global_buffer
      - .actual_access:  write_only
        .address_space:  global
        .offset:         88
        .size:           8
        .value_kind:     global_buffer
    .group_segment_fixed_size: 0
    .kernarg_segment_align: 8
    .kernarg_segment_size: 96
    .language:       OpenCL C
    .language_version:
      - 2
      - 0
    .max_flat_workgroup_size: 128
    .name:           fft_rtc_fwd_len128_factors_2_4_4_4_wgs_128_tpt_8_dim2_dp_op_CI_CI_sbrc_aligned_dirReg
    .private_segment_fixed_size: 0
    .sgpr_count:     24
    .sgpr_spill_count: 0
    .symbol:         fft_rtc_fwd_len128_factors_2_4_4_4_wgs_128_tpt_8_dim2_dp_op_CI_CI_sbrc_aligned_dirReg.kd
    .uniform_work_group_size: 1
    .uses_dynamic_stack: false
    .vgpr_count:     108
    .vgpr_spill_count: 0
    .wavefront_size: 32
    .workgroup_processor_mode: 1
amdhsa.target:   amdgcn-amd-amdhsa--gfx1030
amdhsa.version:
  - 1
  - 2
...

	.end_amdgpu_metadata
